;; amdgpu-corpus repo=ROCm/rocFFT kind=compiled arch=gfx1030 opt=O3
	.text
	.amdgcn_target "amdgcn-amd-amdhsa--gfx1030"
	.amdhsa_code_object_version 6
	.protected	fft_rtc_back_len1250_factors_5_10_5_5_wgs_250_tpt_250_halfLds_dp_op_CI_CI_sbrr_dirReg ; -- Begin function fft_rtc_back_len1250_factors_5_10_5_5_wgs_250_tpt_250_halfLds_dp_op_CI_CI_sbrr_dirReg
	.globl	fft_rtc_back_len1250_factors_5_10_5_5_wgs_250_tpt_250_halfLds_dp_op_CI_CI_sbrr_dirReg
	.p2align	8
	.type	fft_rtc_back_len1250_factors_5_10_5_5_wgs_250_tpt_250_halfLds_dp_op_CI_CI_sbrr_dirReg,@function
fft_rtc_back_len1250_factors_5_10_5_5_wgs_250_tpt_250_halfLds_dp_op_CI_CI_sbrr_dirReg: ; @fft_rtc_back_len1250_factors_5_10_5_5_wgs_250_tpt_250_halfLds_dp_op_CI_CI_sbrr_dirReg
; %bb.0:
	s_clause 0x2
	s_load_dwordx4 s[16:19], s[4:5], 0x18
	s_load_dwordx4 s[12:15], s[4:5], 0x0
	;; [unrolled: 1-line block ×3, first 2 shown]
	v_mul_u32_u24_e32 v2, 0x107, v0
	v_mov_b32_e32 v1, 0
	v_mov_b32_e32 v4, 0
	;; [unrolled: 1-line block ×3, first 2 shown]
	s_waitcnt lgkmcnt(0)
	s_load_dwordx2 s[20:21], s[16:17], 0x0
	s_load_dwordx2 s[2:3], s[18:19], 0x0
	v_cmp_lt_u64_e64 s0, s[14:15], 2
	v_add_nc_u32_sdwa v6, s6, v2 dst_sel:DWORD dst_unused:UNUSED_PAD src0_sel:DWORD src1_sel:WORD_1
	v_mov_b32_e32 v7, v1
	s_and_b32 vcc_lo, exec_lo, s0
	s_cbranch_vccnz .LBB0_8
; %bb.1:
	s_load_dwordx2 s[0:1], s[4:5], 0x10
	v_mov_b32_e32 v4, 0
	v_mov_b32_e32 v5, 0
	s_add_u32 s6, s18, 8
	s_addc_u32 s7, s19, 0
	s_add_u32 s22, s16, 8
	s_addc_u32 s23, s17, 0
	v_mov_b32_e32 v41, v5
	v_mov_b32_e32 v40, v4
	s_mov_b64 s[26:27], 1
	s_waitcnt lgkmcnt(0)
	s_add_u32 s24, s0, 8
	s_addc_u32 s25, s1, 0
.LBB0_2:                                ; =>This Inner Loop Header: Depth=1
	s_load_dwordx2 s[28:29], s[24:25], 0x0
                                        ; implicit-def: $vgpr42_vgpr43
	s_mov_b32 s0, exec_lo
	s_waitcnt lgkmcnt(0)
	v_or_b32_e32 v2, s29, v7
	v_cmpx_ne_u64_e32 0, v[1:2]
	s_xor_b32 s1, exec_lo, s0
	s_cbranch_execz .LBB0_4
; %bb.3:                                ;   in Loop: Header=BB0_2 Depth=1
	v_cvt_f32_u32_e32 v2, s28
	v_cvt_f32_u32_e32 v3, s29
	s_sub_u32 s0, 0, s28
	s_subb_u32 s30, 0, s29
	v_fmac_f32_e32 v2, 0x4f800000, v3
	v_rcp_f32_e32 v2, v2
	v_mul_f32_e32 v2, 0x5f7ffffc, v2
	v_mul_f32_e32 v3, 0x2f800000, v2
	v_trunc_f32_e32 v3, v3
	v_fmac_f32_e32 v2, 0xcf800000, v3
	v_cvt_u32_f32_e32 v3, v3
	v_cvt_u32_f32_e32 v2, v2
	v_mul_lo_u32 v8, s0, v3
	v_mul_hi_u32 v9, s0, v2
	v_mul_lo_u32 v10, s30, v2
	v_add_nc_u32_e32 v8, v9, v8
	v_mul_lo_u32 v9, s0, v2
	v_add_nc_u32_e32 v8, v8, v10
	v_mul_hi_u32 v10, v2, v9
	v_mul_lo_u32 v11, v2, v8
	v_mul_hi_u32 v12, v2, v8
	v_mul_hi_u32 v13, v3, v9
	v_mul_lo_u32 v9, v3, v9
	v_mul_hi_u32 v14, v3, v8
	v_mul_lo_u32 v8, v3, v8
	v_add_co_u32 v10, vcc_lo, v10, v11
	v_add_co_ci_u32_e32 v11, vcc_lo, 0, v12, vcc_lo
	v_add_co_u32 v9, vcc_lo, v10, v9
	v_add_co_ci_u32_e32 v9, vcc_lo, v11, v13, vcc_lo
	v_add_co_ci_u32_e32 v10, vcc_lo, 0, v14, vcc_lo
	v_add_co_u32 v8, vcc_lo, v9, v8
	v_add_co_ci_u32_e32 v9, vcc_lo, 0, v10, vcc_lo
	v_add_co_u32 v2, vcc_lo, v2, v8
	v_add_co_ci_u32_e32 v3, vcc_lo, v3, v9, vcc_lo
	v_mul_hi_u32 v8, s0, v2
	v_mul_lo_u32 v10, s30, v2
	v_mul_lo_u32 v9, s0, v3
	v_add_nc_u32_e32 v8, v8, v9
	v_mul_lo_u32 v9, s0, v2
	v_add_nc_u32_e32 v8, v8, v10
	v_mul_hi_u32 v10, v2, v9
	v_mul_lo_u32 v11, v2, v8
	v_mul_hi_u32 v12, v2, v8
	v_mul_hi_u32 v13, v3, v9
	v_mul_lo_u32 v9, v3, v9
	v_mul_hi_u32 v14, v3, v8
	v_mul_lo_u32 v8, v3, v8
	v_add_co_u32 v10, vcc_lo, v10, v11
	v_add_co_ci_u32_e32 v11, vcc_lo, 0, v12, vcc_lo
	v_add_co_u32 v9, vcc_lo, v10, v9
	v_add_co_ci_u32_e32 v9, vcc_lo, v11, v13, vcc_lo
	v_add_co_ci_u32_e32 v10, vcc_lo, 0, v14, vcc_lo
	v_add_co_u32 v8, vcc_lo, v9, v8
	v_add_co_ci_u32_e32 v9, vcc_lo, 0, v10, vcc_lo
	v_add_co_u32 v8, vcc_lo, v2, v8
	v_add_co_ci_u32_e32 v10, vcc_lo, v3, v9, vcc_lo
	v_mul_hi_u32 v12, v6, v8
	v_mad_u64_u32 v[8:9], null, v7, v8, 0
	v_mad_u64_u32 v[2:3], null, v6, v10, 0
	v_mad_u64_u32 v[10:11], null, v7, v10, 0
	v_add_co_u32 v2, vcc_lo, v12, v2
	v_add_co_ci_u32_e32 v3, vcc_lo, 0, v3, vcc_lo
	v_add_co_u32 v2, vcc_lo, v2, v8
	v_add_co_ci_u32_e32 v2, vcc_lo, v3, v9, vcc_lo
	v_add_co_ci_u32_e32 v3, vcc_lo, 0, v11, vcc_lo
	v_add_co_u32 v8, vcc_lo, v2, v10
	v_add_co_ci_u32_e32 v9, vcc_lo, 0, v3, vcc_lo
	v_mul_lo_u32 v10, s29, v8
	v_mad_u64_u32 v[2:3], null, s28, v8, 0
	v_mul_lo_u32 v11, s28, v9
	v_sub_co_u32 v2, vcc_lo, v6, v2
	v_add3_u32 v3, v3, v11, v10
	v_sub_nc_u32_e32 v10, v7, v3
	v_subrev_co_ci_u32_e64 v10, s0, s29, v10, vcc_lo
	v_add_co_u32 v11, s0, v8, 2
	v_add_co_ci_u32_e64 v12, s0, 0, v9, s0
	v_sub_co_u32 v13, s0, v2, s28
	v_sub_co_ci_u32_e32 v3, vcc_lo, v7, v3, vcc_lo
	v_subrev_co_ci_u32_e64 v10, s0, 0, v10, s0
	v_cmp_le_u32_e32 vcc_lo, s28, v13
	v_cmp_eq_u32_e64 s0, s29, v3
	v_cndmask_b32_e64 v13, 0, -1, vcc_lo
	v_cmp_le_u32_e32 vcc_lo, s29, v10
	v_cndmask_b32_e64 v14, 0, -1, vcc_lo
	v_cmp_le_u32_e32 vcc_lo, s28, v2
	;; [unrolled: 2-line block ×3, first 2 shown]
	v_cndmask_b32_e64 v15, 0, -1, vcc_lo
	v_cmp_eq_u32_e32 vcc_lo, s29, v10
	v_cndmask_b32_e64 v2, v15, v2, s0
	v_cndmask_b32_e32 v10, v14, v13, vcc_lo
	v_add_co_u32 v13, vcc_lo, v8, 1
	v_add_co_ci_u32_e32 v14, vcc_lo, 0, v9, vcc_lo
	v_cmp_ne_u32_e32 vcc_lo, 0, v10
	v_cndmask_b32_e32 v3, v14, v12, vcc_lo
	v_cndmask_b32_e32 v10, v13, v11, vcc_lo
	v_cmp_ne_u32_e32 vcc_lo, 0, v2
	v_cndmask_b32_e32 v43, v9, v3, vcc_lo
	v_cndmask_b32_e32 v42, v8, v10, vcc_lo
.LBB0_4:                                ;   in Loop: Header=BB0_2 Depth=1
	s_andn2_saveexec_b32 s0, s1
	s_cbranch_execz .LBB0_6
; %bb.5:                                ;   in Loop: Header=BB0_2 Depth=1
	v_cvt_f32_u32_e32 v2, s28
	s_sub_i32 s1, 0, s28
	v_mov_b32_e32 v43, v1
	v_rcp_iflag_f32_e32 v2, v2
	v_mul_f32_e32 v2, 0x4f7ffffe, v2
	v_cvt_u32_f32_e32 v2, v2
	v_mul_lo_u32 v3, s1, v2
	v_mul_hi_u32 v3, v2, v3
	v_add_nc_u32_e32 v2, v2, v3
	v_mul_hi_u32 v2, v6, v2
	v_mul_lo_u32 v3, v2, s28
	v_add_nc_u32_e32 v8, 1, v2
	v_sub_nc_u32_e32 v3, v6, v3
	v_subrev_nc_u32_e32 v9, s28, v3
	v_cmp_le_u32_e32 vcc_lo, s28, v3
	v_cndmask_b32_e32 v3, v3, v9, vcc_lo
	v_cndmask_b32_e32 v2, v2, v8, vcc_lo
	v_cmp_le_u32_e32 vcc_lo, s28, v3
	v_add_nc_u32_e32 v8, 1, v2
	v_cndmask_b32_e32 v42, v2, v8, vcc_lo
.LBB0_6:                                ;   in Loop: Header=BB0_2 Depth=1
	s_or_b32 exec_lo, exec_lo, s0
	v_mul_lo_u32 v8, v43, s28
	v_mul_lo_u32 v9, v42, s29
	s_load_dwordx2 s[0:1], s[22:23], 0x0
	v_mad_u64_u32 v[2:3], null, v42, s28, 0
	s_load_dwordx2 s[28:29], s[6:7], 0x0
	s_add_u32 s26, s26, 1
	s_addc_u32 s27, s27, 0
	s_add_u32 s6, s6, 8
	s_addc_u32 s7, s7, 0
	s_add_u32 s22, s22, 8
	v_add3_u32 v3, v3, v9, v8
	v_sub_co_u32 v2, vcc_lo, v6, v2
	s_addc_u32 s23, s23, 0
	s_add_u32 s24, s24, 8
	v_sub_co_ci_u32_e32 v3, vcc_lo, v7, v3, vcc_lo
	s_addc_u32 s25, s25, 0
	s_waitcnt lgkmcnt(0)
	v_mul_lo_u32 v6, s0, v3
	v_mul_lo_u32 v7, s1, v2
	v_mad_u64_u32 v[4:5], null, s0, v2, v[4:5]
	v_mul_lo_u32 v3, s28, v3
	v_mul_lo_u32 v8, s29, v2
	v_mad_u64_u32 v[40:41], null, s28, v2, v[40:41]
	v_cmp_ge_u64_e64 s0, s[26:27], s[14:15]
	v_add3_u32 v5, v7, v5, v6
	v_add3_u32 v41, v8, v41, v3
	s_and_b32 vcc_lo, exec_lo, s0
	s_cbranch_vccnz .LBB0_9
; %bb.7:                                ;   in Loop: Header=BB0_2 Depth=1
	v_mov_b32_e32 v6, v42
	v_mov_b32_e32 v7, v43
	s_branch .LBB0_2
.LBB0_8:
	v_mov_b32_e32 v41, v5
	v_mov_b32_e32 v43, v7
	;; [unrolled: 1-line block ×4, first 2 shown]
.LBB0_9:
	s_load_dwordx2 s[0:1], s[4:5], 0x28
	v_mul_hi_u32 v1, 0x10624de, v0
	s_lshl_b64 s[6:7], s[14:15], 3
                                        ; implicit-def: $vgpr65
	s_add_u32 s4, s18, s6
	s_addc_u32 s5, s19, s7
	s_waitcnt lgkmcnt(0)
	v_cmp_gt_u64_e32 vcc_lo, s[0:1], v[42:43]
	v_cmp_le_u64_e64 s0, s[0:1], v[42:43]
                                        ; implicit-def: $sgpr1
	s_and_saveexec_b32 s14, s0
	s_xor_b32 s0, exec_lo, s14
; %bb.10:
	v_mul_u32_u24_e32 v1, 0xfa, v1
	s_mov_b32 s1, 0
                                        ; implicit-def: $vgpr4_vgpr5
	v_sub_nc_u32_e32 v65, v0, v1
                                        ; implicit-def: $vgpr1
                                        ; implicit-def: $vgpr0
; %bb.11:
	s_or_saveexec_b32 s14, s0
	v_mov_b32_e32 v64, s1
                                        ; implicit-def: $vgpr2_vgpr3
                                        ; implicit-def: $vgpr26_vgpr27
                                        ; implicit-def: $vgpr30_vgpr31
                                        ; implicit-def: $vgpr34_vgpr35
                                        ; implicit-def: $vgpr38_vgpr39
	s_xor_b32 exec_lo, exec_lo, s14
	s_cbranch_execz .LBB0_13
; %bb.12:
	s_add_u32 s0, s16, s6
	s_addc_u32 s1, s17, s7
	v_mul_u32_u24_e32 v1, 0xfa, v1
	s_load_dwordx2 s[0:1], s[0:1], 0x0
	v_lshlrev_b64 v[4:5], 4, v[4:5]
	v_sub_nc_u32_e32 v65, v0, v1
	v_add_nc_u32_e32 v16, 0xfa, v65
	v_add_nc_u32_e32 v17, 0x1f4, v65
	;; [unrolled: 1-line block ×3, first 2 shown]
	v_mad_u64_u32 v[0:1], null, s20, v65, 0
	v_mad_u64_u32 v[2:3], null, s20, v16, 0
	v_add_nc_u32_e32 v19, 0x3e8, v65
	v_mad_u64_u32 v[6:7], null, s20, v17, 0
	v_mad_u64_u32 v[8:9], null, s20, v18, 0
	s_waitcnt lgkmcnt(0)
	v_mul_lo_u32 v20, s1, v42
	v_mul_lo_u32 v21, s0, v43
	v_mad_u64_u32 v[10:11], null, s0, v42, 0
	v_mad_u64_u32 v[12:13], null, s20, v19, 0
	;; [unrolled: 1-line block ×3, first 2 shown]
	v_mov_b32_e32 v1, v3
	v_mov_b32_e32 v3, v7
	v_add3_u32 v11, v11, v21, v20
	v_mov_b32_e32 v7, v9
	v_mov_b32_e32 v9, v13
	v_mad_u64_u32 v[15:16], null, s21, v16, v[1:2]
	v_lshlrev_b64 v[10:11], 4, v[10:11]
	v_mov_b32_e32 v1, v14
	v_mad_u64_u32 v[13:14], null, s21, v17, v[3:4]
	v_mad_u64_u32 v[16:17], null, s21, v18, v[7:8]
	v_add_co_u32 v7, s0, s8, v10
	v_add_co_ci_u32_e64 v10, s0, s9, v11, s0
	v_mov_b32_e32 v3, v15
	v_add_co_u32 v11, s0, v7, v4
	v_add_co_ci_u32_e64 v14, s0, v10, v5, s0
	v_mad_u64_u32 v[4:5], null, s21, v19, v[9:10]
	v_lshlrev_b64 v[0:1], 4, v[0:1]
	v_mov_b32_e32 v7, v13
	v_lshlrev_b64 v[2:3], 4, v[2:3]
	v_mov_b32_e32 v9, v16
	v_mov_b32_e32 v64, v65
	v_add_co_u32 v0, s0, v11, v0
	v_lshlrev_b64 v[5:6], 4, v[6:7]
	v_mov_b32_e32 v13, v4
	v_add_co_ci_u32_e64 v1, s0, v14, v1, s0
	v_add_co_u32 v2, s0, v11, v2
	v_lshlrev_b64 v[7:8], 4, v[8:9]
	v_add_co_ci_u32_e64 v3, s0, v14, v3, s0
	v_add_co_u32 v4, s0, v11, v5
	v_lshlrev_b64 v[9:10], 4, v[12:13]
	v_add_co_ci_u32_e64 v5, s0, v14, v6, s0
	v_add_co_u32 v6, s0, v11, v7
	v_add_co_ci_u32_e64 v7, s0, v14, v8, s0
	v_add_co_u32 v8, s0, v11, v9
	v_add_co_ci_u32_e64 v9, s0, v14, v10, s0
	s_clause 0x4
	global_load_dwordx4 v[36:39], v[0:1], off
	global_load_dwordx4 v[32:35], v[2:3], off
	;; [unrolled: 1-line block ×5, first 2 shown]
.LBB0_13:
	s_or_b32 exec_lo, exec_lo, s14
	s_waitcnt vmcnt(1)
	v_add_f64 v[4:5], v[24:25], v[28:29]
	s_waitcnt vmcnt(0)
	v_add_f64 v[6:7], v[0:1], v[32:33]
	v_add_f64 v[8:9], v[32:33], v[36:37]
	v_add_f64 v[10:11], v[34:35], -v[2:3]
	v_add_f64 v[12:13], v[30:31], -v[26:27]
	s_mov_b32 s6, 0x134454ff
	s_mov_b32 s7, 0xbfee6f0e
	;; [unrolled: 1-line block ×4, first 2 shown]
	v_add_f64 v[14:15], v[32:33], -v[28:29]
	v_add_f64 v[16:17], v[0:1], -v[24:25]
	;; [unrolled: 1-line block ×4, first 2 shown]
	s_mov_b32 s14, 0x4755a5e
	s_mov_b32 s15, 0xbfe2cf23
	;; [unrolled: 1-line block ×6, first 2 shown]
	s_load_dwordx2 s[4:5], s[4:5], 0x0
	v_mad_u32_u24 v44, v65, 40, 0
	v_cmp_gt_u32_e64 s0, 0x7d, v65
	v_fma_f64 v[4:5], v[4:5], -0.5, v[36:37]
	v_fma_f64 v[6:7], v[6:7], -0.5, v[36:37]
	v_add_f64 v[8:9], v[28:29], v[8:9]
	v_lshlrev_b32_e32 v45, 5, v65
	v_add_f64 v[14:15], v[16:17], v[14:15]
	v_add_f64 v[16:17], v[20:21], v[18:19]
	v_fma_f64 v[22:23], v[10:11], s[6:7], v[4:5]
	v_fma_f64 v[36:37], v[12:13], s[8:9], v[6:7]
	v_fma_f64 v[6:7], v[12:13], s[6:7], v[6:7]
	v_fma_f64 v[4:5], v[10:11], s[8:9], v[4:5]
	v_add_f64 v[8:9], v[24:25], v[8:9]
	v_fma_f64 v[18:19], v[12:13], s[14:15], v[22:23]
	v_fma_f64 v[20:21], v[10:11], s[14:15], v[36:37]
	v_fma_f64 v[10:11], v[10:11], s[16:17], v[6:7]
	v_fma_f64 v[12:13], v[12:13], s[16:17], v[4:5]
	v_add_f64 v[4:5], v[0:1], v[8:9]
	v_fma_f64 v[6:7], v[14:15], s[18:19], v[18:19]
	v_fma_f64 v[20:21], v[16:17], s[18:19], v[20:21]
	v_fma_f64 v[22:23], v[16:17], s[18:19], v[10:11]
	v_fma_f64 v[16:17], v[14:15], s[18:19], v[12:13]
                                        ; implicit-def: $vgpr10_vgpr11
                                        ; implicit-def: $vgpr14_vgpr15
	ds_write2_b64 v44, v[4:5], v[6:7] offset1:1
	ds_write2_b64 v44, v[20:21], v[22:23] offset0:2 offset1:3
	ds_write_b64 v44, v[16:17] offset:32
	s_waitcnt lgkmcnt(0)
	s_barrier
	buffer_gl0_inv
	s_and_saveexec_b32 s1, s0
	s_cbranch_execz .LBB0_15
; %bb.14:
	v_sub_nc_u32_e32 v4, v44, v45
	v_add_nc_u32_e32 v8, 0x400, v4
	v_add_nc_u32_e32 v9, 0xc00, v4
	;; [unrolled: 1-line block ×4, first 2 shown]
	ds_read2_b64 v[4:7], v4 offset1:125
	ds_read2_b64 v[20:23], v8 offset0:122 offset1:247
	ds_read2_b64 v[16:19], v9 offset0:116 offset1:241
	;; [unrolled: 1-line block ×4, first 2 shown]
.LBB0_15:
	s_or_b32 exec_lo, exec_lo, s1
	v_add_f64 v[36:37], v[26:27], v[30:31]
	v_add_f64 v[46:47], v[2:3], v[34:35]
	;; [unrolled: 1-line block ×3, first 2 shown]
	v_add_f64 v[0:1], v[32:33], -v[0:1]
	v_add_f64 v[24:25], v[28:29], -v[24:25]
	s_waitcnt lgkmcnt(0)
	s_barrier
	buffer_gl0_inv
	v_fma_f64 v[28:29], v[36:37], -0.5, v[38:39]
	v_fma_f64 v[32:33], v[46:47], -0.5, v[38:39]
	v_add_f64 v[36:37], v[34:35], -v[30:31]
	v_add_f64 v[38:39], v[2:3], -v[26:27]
	v_add_f64 v[34:35], v[30:31], -v[34:35]
	v_add_f64 v[46:47], v[26:27], -v[2:3]
	v_add_f64 v[30:31], v[30:31], v[48:49]
	v_fma_f64 v[48:49], v[0:1], s[8:9], v[28:29]
	v_fma_f64 v[50:51], v[24:25], s[6:7], v[32:33]
	;; [unrolled: 1-line block ×4, first 2 shown]
	v_add_f64 v[52:53], v[38:39], v[36:37]
	v_add_f64 v[34:35], v[46:47], v[34:35]
	;; [unrolled: 1-line block ×3, first 2 shown]
	v_fma_f64 v[30:31], v[24:25], s[16:17], v[48:49]
	v_fma_f64 v[36:37], v[0:1], s[16:17], v[50:51]
	;; [unrolled: 1-line block ×4, first 2 shown]
	v_add_f64 v[0:1], v[2:3], v[26:27]
                                        ; implicit-def: $vgpr26_vgpr27
	v_fma_f64 v[2:3], v[52:53], s[18:19], v[30:31]
	v_fma_f64 v[36:37], v[34:35], s[18:19], v[36:37]
	;; [unrolled: 1-line block ×4, first 2 shown]
                                        ; implicit-def: $vgpr30_vgpr31
	ds_write2_b64 v44, v[0:1], v[2:3] offset1:1
	ds_write2_b64 v44, v[36:37], v[38:39] offset0:2 offset1:3
	ds_write_b64 v44, v[32:33] offset:32
	s_waitcnt lgkmcnt(0)
	s_barrier
	buffer_gl0_inv
	s_and_saveexec_b32 s1, s0
	s_cbranch_execz .LBB0_17
; %bb.16:
	v_sub_nc_u32_e32 v0, v44, v45
	v_add_nc_u32_e32 v24, 0x400, v0
	v_add_nc_u32_e32 v25, 0xc00, v0
	;; [unrolled: 1-line block ×4, first 2 shown]
	ds_read2_b64 v[0:3], v0 offset1:125
	ds_read2_b64 v[36:39], v24 offset0:122 offset1:247
	ds_read2_b64 v[32:35], v25 offset0:116 offset1:241
	;; [unrolled: 1-line block ×4, first 2 shown]
.LBB0_17:
	s_or_b32 exec_lo, exec_lo, s1
	v_and_b32_e32 v66, 0xff, v65
	v_mov_b32_e32 v45, 9
	s_mov_b32 s8, s6
	s_mov_b32 s16, s14
	v_mul_lo_u16 v44, 0xcd, v66
	v_lshrrev_b16 v67, 10, v44
	v_mul_lo_u16 v44, v67, 5
	v_sub_nc_u16 v68, v65, v44
	v_mul_u32_u24_sdwa v44, v68, v45 dst_sel:DWORD dst_unused:UNUSED_PAD src0_sel:BYTE_0 src1_sel:DWORD
	v_lshlrev_b32_e32 v52, 4, v44
	s_clause 0x8
	global_load_dwordx4 v[44:47], v52, s[12:13] offset:32
	global_load_dwordx4 v[48:51], v52, s[12:13] offset:64
	;; [unrolled: 1-line block ×5, first 2 shown]
	global_load_dwordx4 v[73:76], v52, s[12:13]
	global_load_dwordx4 v[77:80], v52, s[12:13] offset:48
	global_load_dwordx4 v[81:84], v52, s[12:13] offset:80
	;; [unrolled: 1-line block ×3, first 2 shown]
	s_waitcnt vmcnt(0) lgkmcnt(0)
	s_barrier
	buffer_gl0_inv
	v_mul_f64 v[52:53], v[38:39], v[46:47]
	v_mul_f64 v[46:47], v[22:23], v[46:47]
	;; [unrolled: 1-line block ×6, first 2 shown]
	v_fma_f64 v[50:51], v[22:23], v[44:45], v[52:53]
	v_fma_f64 v[22:23], v[38:39], v[44:45], -v[46:47]
	v_mul_f64 v[38:39], v[26:27], v[71:72]
	v_mul_f64 v[44:45], v[14:15], v[56:57]
	v_fma_f64 v[52:53], v[18:19], v[48:49], v[62:63]
	v_fma_f64 v[18:19], v[34:35], v[48:49], -v[89:90]
	v_mul_f64 v[46:47], v[10:11], v[71:72]
	v_mul_f64 v[56:57], v[2:3], v[75:76]
	v_fma_f64 v[48:49], v[14:15], v[54:55], v[91:92]
	v_fma_f64 v[34:35], v[20:21], v[58:59], v[93:94]
	v_mul_f64 v[20:21], v[20:21], v[60:61]
	v_mul_f64 v[60:61], v[32:33], v[79:80]
	v_fma_f64 v[38:39], v[10:11], v[69:70], v[38:39]
	v_fma_f64 v[14:15], v[30:31], v[54:55], -v[44:45]
	v_mul_f64 v[30:31], v[16:17], v[79:80]
	v_mul_f64 v[44:45], v[28:29], v[83:84]
	v_fma_f64 v[10:11], v[26:27], v[69:70], -v[46:47]
	v_mul_f64 v[46:47], v[6:7], v[75:76]
	v_fma_f64 v[6:7], v[6:7], v[73:74], v[56:57]
	v_add_f64 v[54:55], v[52:53], v[48:49]
	v_fma_f64 v[20:21], v[36:37], v[58:59], -v[20:21]
	v_fma_f64 v[26:27], v[16:17], v[77:78], v[60:61]
	v_add_f64 v[58:59], v[22:23], -v[18:19]
	v_add_f64 v[62:63], v[18:19], -v[22:23]
	v_add_f64 v[36:37], v[50:51], v[38:39]
	v_add_f64 v[56:57], v[48:49], -v[38:39]
	v_fma_f64 v[16:17], v[32:33], v[77:78], -v[30:31]
	v_fma_f64 v[30:31], v[12:13], v[81:82], v[44:45]
	v_add_f64 v[44:45], v[38:39], -v[48:49]
	v_fma_f64 v[32:33], v[2:3], v[73:74], -v[46:47]
	v_add_f64 v[2:3], v[50:51], -v[52:53]
	v_add_f64 v[46:47], v[52:53], -v[50:51]
	;; [unrolled: 1-line block ×4, first 2 shown]
	v_fma_f64 v[54:55], v[54:55], -0.5, v[6:7]
	v_add_f64 v[71:72], v[14:15], -v[10:11]
	v_add_f64 v[73:74], v[18:19], v[14:15]
	v_add_f64 v[75:76], v[18:19], -v[14:15]
	v_add_f64 v[77:78], v[22:23], v[10:11]
	v_mul_f64 v[12:13], v[12:13], v[83:84]
	v_fma_f64 v[36:37], v[36:37], -0.5, v[6:7]
	v_add_f64 v[2:3], v[2:3], v[44:45]
	v_add_f64 v[44:45], v[50:51], -v[38:39]
	v_add_f64 v[56:57], v[46:47], v[56:57]
	v_add_f64 v[46:47], v[52:53], -v[48:49]
	v_add_f64 v[58:59], v[58:59], v[60:61]
	v_fma_f64 v[60:61], v[69:70], s[6:7], v[54:55]
	v_fma_f64 v[54:55], v[69:70], s[8:9], v[54:55]
	v_fma_f64 v[73:74], v[73:74], -0.5, v[32:33]
	v_add_f64 v[71:72], v[62:63], v[71:72]
	v_fma_f64 v[77:78], v[77:78], -0.5, v[32:33]
	v_fma_f64 v[62:63], v[75:76], s[8:9], v[36:37]
	v_fma_f64 v[36:37], v[75:76], s[6:7], v[36:37]
	;; [unrolled: 1-line block ×10, first 2 shown]
	v_mul_f64 v[77:78], v[24:25], v[87:88]
	v_fma_f64 v[75:76], v[46:47], s[16:17], v[75:76]
	v_fma_f64 v[73:74], v[46:47], s[14:15], v[73:74]
	v_fma_f64 v[46:47], v[28:29], v[81:82], -v[12:13]
	v_fma_f64 v[28:29], v[2:3], s[18:19], v[60:61]
	v_fma_f64 v[83:84], v[44:45], s[16:17], v[36:37]
	;; [unrolled: 1-line block ×3, first 2 shown]
	v_mul_f64 v[36:37], v[8:9], v[87:88]
	v_fma_f64 v[62:63], v[8:9], v[85:86], v[77:78]
	v_fma_f64 v[44:45], v[56:57], s[18:19], v[69:70]
	;; [unrolled: 1-line block ×3, first 2 shown]
	v_fma_f64 v[12:13], v[24:25], v[85:86], -v[36:37]
	v_fma_f64 v[24:25], v[2:3], s[18:19], v[54:55]
	v_fma_f64 v[36:37], v[56:57], s[18:19], v[79:80]
	;; [unrolled: 1-line block ×5, first 2 shown]
	s_and_saveexec_b32 s1, s0
	s_cbranch_execz .LBB0_19
; %bb.18:
	v_add_f64 v[2:3], v[26:27], v[30:31]
	v_add_f64 v[8:9], v[34:35], v[62:63]
	;; [unrolled: 1-line block ×4, first 2 shown]
	v_add_f64 v[50:51], v[20:21], -v[12:13]
	v_add_f64 v[69:70], v[16:17], -v[46:47]
	;; [unrolled: 1-line block ×4, first 2 shown]
	v_mul_f64 v[81:82], v[54:55], s[14:15]
	v_mul_f64 v[87:88], v[60:61], s[14:15]
	;; [unrolled: 1-line block ×4, first 2 shown]
	v_fma_f64 v[2:3], v[2:3], -0.5, v[4:5]
	v_fma_f64 v[4:5], v[8:9], -0.5, v[4:5]
	v_add_f64 v[8:9], v[34:35], -v[26:27]
	v_add_f64 v[71:72], v[71:72], v[26:27]
	v_add_f64 v[6:7], v[6:7], v[52:53]
	v_add_f64 v[52:53], v[30:31], -v[62:63]
	v_fma_f64 v[77:78], v[50:51], s[8:9], v[2:3]
	v_fma_f64 v[2:3], v[50:51], s[6:7], v[2:3]
	;; [unrolled: 1-line block ×4, first 2 shown]
	v_add_f64 v[8:9], v[8:9], v[73:74]
	v_add_f64 v[71:72], v[71:72], v[30:31]
	;; [unrolled: 1-line block ×4, first 2 shown]
	s_mov_b32 s7, 0xbfe9e377
	s_mov_b32 s6, 0x9b97f4a8
	;; [unrolled: 1-line block ×4, first 2 shown]
	v_fma_f64 v[75:76], v[36:37], s[18:19], v[85:86]
	v_fma_f64 v[52:53], v[69:70], s[16:17], v[77:78]
	;; [unrolled: 1-line block ×6, first 2 shown]
	s_mov_b32 s7, 0x3fe9e377
	v_add_f64 v[71:72], v[71:72], v[62:63]
	v_add_f64 v[6:7], v[6:7], v[38:39]
	v_fma_f64 v[38:39], v[28:29], s[6:7], v[87:88]
	v_fma_f64 v[69:70], v[44:45], s[8:9], v[83:84]
	;; [unrolled: 1-line block ×6, first 2 shown]
	v_add_f64 v[8:9], v[71:72], -v[6:7]
	v_add_f64 v[6:7], v[71:72], v[6:7]
	v_add_f64 v[48:49], v[52:53], -v[50:51]
	v_add_f64 v[79:80], v[2:3], v[38:39]
	;; [unrolled: 2-line block ×3, first 2 shown]
	v_add_f64 v[73:74], v[73:74], v[75:76]
	v_add_f64 v[50:51], v[52:53], v[50:51]
	v_add_f64 v[2:3], v[2:3], -v[38:39]
	v_add_f64 v[4:5], v[4:5], -v[69:70]
	v_mov_b32_e32 v38, 0x190
	v_mov_b32_e32 v39, 3
	v_mul_u32_u24_sdwa v38, v67, v38 dst_sel:DWORD dst_unused:UNUSED_PAD src0_sel:WORD_0 src1_sel:DWORD
	v_lshlrev_b32_sdwa v39, v39, v68 dst_sel:DWORD dst_unused:UNUSED_PAD src0_sel:DWORD src1_sel:BYTE_0
	v_add3_u32 v38, 0, v38, v39
	ds_write2_b64 v38, v[6:7], v[79:80] offset1:5
	ds_write2_b64 v38, v[73:74], v[77:78] offset0:10 offset1:15
	ds_write2_b64 v38, v[50:51], v[8:9] offset0:20 offset1:25
	;; [unrolled: 1-line block ×4, first 2 shown]
.LBB0_19:
	s_or_b32 exec_lo, exec_lo, s1
	v_lshl_add_u32 v48, v65, 3, 0
	s_waitcnt lgkmcnt(0)
	s_barrier
	buffer_gl0_inv
	v_add_nc_u32_e32 v49, 0xf80, v48
	ds_read2_b64 v[2:5], v48 offset1:250
	ds_read2_b64 v[6:9], v49 offset0:4 offset1:254
	ds_read_b64 v[38:39], v48 offset:8000
	s_waitcnt lgkmcnt(0)
	s_barrier
	buffer_gl0_inv
	s_and_saveexec_b32 s1, s0
	s_cbranch_execz .LBB0_21
; %bb.20:
	v_add_f64 v[50:51], v[16:17], v[46:47]
	v_add_f64 v[52:53], v[20:21], v[12:13]
	;; [unrolled: 1-line block ×3, first 2 shown]
	v_add_f64 v[34:35], v[34:35], -v[62:63]
	v_add_f64 v[22:23], v[32:33], v[22:23]
	v_add_f64 v[26:27], v[26:27], -v[30:31]
	s_mov_b32 s6, 0x134454ff
	s_mov_b32 s7, 0x3fee6f0e
	;; [unrolled: 1-line block ×4, first 2 shown]
	v_add_f64 v[32:33], v[20:21], -v[16:17]
	v_add_f64 v[20:21], v[16:17], -v[20:21]
	s_mov_b32 s18, 0x9b97f4a8
	s_mov_b32 s14, 0x372fe950
	;; [unrolled: 1-line block ×5, first 2 shown]
	v_mul_f64 v[60:61], v[60:61], s[18:19]
	v_mul_f64 v[58:59], v[58:59], s[14:15]
	;; [unrolled: 1-line block ×4, first 2 shown]
	v_fma_f64 v[30:31], v[50:51], -0.5, v[0:1]
	v_fma_f64 v[0:1], v[52:53], -0.5, v[0:1]
	v_add_f64 v[50:51], v[12:13], -v[46:47]
	v_add_f64 v[52:53], v[46:47], -v[12:13]
	v_add_f64 v[16:17], v[69:70], v[16:17]
	v_add_f64 v[18:19], v[22:23], v[18:19]
	v_fma_f64 v[22:23], v[34:35], s[6:7], v[30:31]
	v_fma_f64 v[62:63], v[26:27], s[8:9], v[0:1]
	;; [unrolled: 1-line block ×4, first 2 shown]
	s_mov_b32 s8, 0x4755a5e
	s_mov_b32 s9, 0x3fe2cf23
	;; [unrolled: 1-line block ×3, first 2 shown]
	v_add_f64 v[32:33], v[32:33], v[50:51]
	v_add_f64 v[16:17], v[16:17], v[46:47]
	;; [unrolled: 1-line block ×4, first 2 shown]
	v_fma_f64 v[28:29], v[28:29], s[8:9], v[60:61]
	v_fma_f64 v[20:21], v[26:27], s[8:9], v[22:23]
	v_fma_f64 v[22:23], v[34:35], s[8:9], v[62:63]
	v_fma_f64 v[0:1], v[34:35], s[16:17], v[0:1]
	v_fma_f64 v[26:27], v[26:27], s[16:17], v[30:31]
	v_fma_f64 v[30:31], v[36:37], s[6:7], v[58:59]
	v_fma_f64 v[34:35], v[44:45], s[6:7], -v[56:57]
	v_add_f64 v[12:13], v[16:17], v[12:13]
	v_add_f64 v[10:11], v[14:15], v[10:11]
	v_fma_f64 v[14:15], v[24:25], s[8:9], -v[54:55]
	v_fma_f64 v[16:17], v[32:33], s[14:15], v[20:21]
	v_fma_f64 v[20:21], v[18:19], s[14:15], v[22:23]
	;; [unrolled: 1-line block ×4, first 2 shown]
	v_add_f64 v[22:23], v[12:13], v[10:11]
	v_add_f64 v[10:11], v[12:13], -v[10:11]
	v_add_f64 v[12:13], v[16:17], v[28:29]
	v_add_f64 v[24:25], v[20:21], v[30:31]
	;; [unrolled: 1-line block ×4, first 2 shown]
	v_add_f64 v[16:17], v[16:17], -v[28:29]
	v_add_f64 v[20:21], v[20:21], -v[30:31]
	;; [unrolled: 1-line block ×4, first 2 shown]
	v_mov_b32_e32 v18, 0x190
	v_mov_b32_e32 v19, 3
	v_mul_u32_u24_sdwa v18, v67, v18 dst_sel:DWORD dst_unused:UNUSED_PAD src0_sel:WORD_0 src1_sel:DWORD
	v_lshlrev_b32_sdwa v19, v19, v68 dst_sel:DWORD dst_unused:UNUSED_PAD src0_sel:DWORD src1_sel:BYTE_0
	v_add3_u32 v18, 0, v18, v19
	ds_write2_b64 v18, v[22:23], v[12:13] offset1:5
	ds_write2_b64 v18, v[24:25], v[26:27] offset0:10 offset1:15
	ds_write2_b64 v18, v[32:33], v[10:11] offset0:20 offset1:25
	;; [unrolled: 1-line block ×4, first 2 shown]
.LBB0_21:
	s_or_b32 exec_lo, exec_lo, s1
	v_mul_lo_u16 v0, v66, 41
	v_mov_b32_e32 v1, 6
	s_waitcnt lgkmcnt(0)
	s_barrier
	buffer_gl0_inv
	v_lshrrev_b16 v56, 11, v0
	s_mov_b32 s8, 0x134454ff
	s_mov_b32 s9, 0xbfee6f0e
	;; [unrolled: 1-line block ×4, first 2 shown]
	v_mul_lo_u16 v0, v56, 50
	s_mov_b32 s0, 0x4755a5e
	s_mov_b32 s1, 0xbfe2cf23
	;; [unrolled: 1-line block ×4, first 2 shown]
	v_sub_nc_u16 v57, v65, v0
	s_mov_b32 s6, 0x372fe950
	s_mov_b32 s7, 0x3fd3c6ef
	v_lshlrev_b32_sdwa v0, v1, v57 dst_sel:DWORD dst_unused:UNUSED_PAD src0_sel:DWORD src1_sel:BYTE_0
	s_clause 0x3
	global_load_dwordx4 v[10:13], v0, s[12:13] offset:720
	global_load_dwordx4 v[14:17], v0, s[12:13] offset:736
	;; [unrolled: 1-line block ×4, first 2 shown]
	ds_read2_b64 v[26:29], v48 offset1:250
	ds_read2_b64 v[30:33], v49 offset0:4 offset1:254
	ds_read_b64 v[0:1], v48 offset:8000
	s_waitcnt vmcnt(0) lgkmcnt(0)
	s_barrier
	buffer_gl0_inv
	v_mul_f64 v[34:35], v[28:29], v[12:13]
	v_mul_f64 v[36:37], v[30:31], v[16:17]
	;; [unrolled: 1-line block ×8, first 2 shown]
	v_fma_f64 v[4:5], v[4:5], v[10:11], v[34:35]
	v_fma_f64 v[6:7], v[6:7], v[14:15], v[36:37]
	;; [unrolled: 1-line block ×4, first 2 shown]
	v_fma_f64 v[10:11], v[28:29], v[10:11], -v[12:13]
	v_fma_f64 v[12:13], v[30:31], v[14:15], -v[16:17]
	;; [unrolled: 1-line block ×4, first 2 shown]
	v_add_f64 v[20:21], v[2:3], v[4:5]
	v_add_f64 v[36:37], v[6:7], -v[4:5]
	v_add_f64 v[16:17], v[6:7], v[8:9]
	v_add_f64 v[18:19], v[4:5], v[34:35]
	;; [unrolled: 1-line block ×3, first 2 shown]
	v_add_f64 v[32:33], v[34:35], -v[8:9]
	v_add_f64 v[22:23], v[12:13], v[14:15]
	v_add_f64 v[24:25], v[10:11], -v[0:1]
	v_add_f64 v[28:29], v[10:11], v[0:1]
	v_add_f64 v[30:31], v[12:13], -v[14:15]
	v_add_f64 v[38:39], v[8:9], -v[34:35]
	;; [unrolled: 1-line block ×6, first 2 shown]
	v_add_f64 v[20:21], v[20:21], v[6:7]
	v_fma_f64 v[16:17], v[16:17], -0.5, v[2:3]
	v_fma_f64 v[2:3], v[18:19], -0.5, v[2:3]
	v_add_f64 v[18:19], v[4:5], -v[6:7]
	v_add_f64 v[4:5], v[4:5], -v[34:35]
	v_fma_f64 v[22:23], v[22:23], -0.5, v[26:27]
	v_add_f64 v[6:7], v[6:7], -v[8:9]
	v_fma_f64 v[26:27], v[28:29], -0.5, v[26:27]
	v_add_f64 v[12:13], v[44:45], v[12:13]
	v_add_f64 v[10:11], v[10:11], v[54:55]
	;; [unrolled: 1-line block ×3, first 2 shown]
	v_fma_f64 v[28:29], v[24:25], s[8:9], v[16:17]
	v_fma_f64 v[46:47], v[30:31], s[16:17], v[2:3]
	;; [unrolled: 1-line block ×5, first 2 shown]
	v_add_f64 v[18:19], v[18:19], v[32:33]
	v_add_f64 v[32:33], v[36:37], v[38:39]
	v_fma_f64 v[22:23], v[4:5], s[8:9], v[22:23]
	v_fma_f64 v[36:37], v[6:7], s[8:9], v[26:27]
	;; [unrolled: 1-line block ×3, first 2 shown]
	v_add_f64 v[12:13], v[12:13], v[14:15]
	v_add_f64 v[8:9], v[8:9], v[34:35]
	v_fma_f64 v[28:29], v[30:31], s[0:1], v[28:29]
	v_fma_f64 v[38:39], v[24:25], s[0:1], v[46:47]
	v_fma_f64 v[2:3], v[24:25], s[14:15], v[2:3]
	v_fma_f64 v[16:17], v[30:31], s[14:15], v[16:17]
	v_add_f64 v[24:25], v[50:51], v[52:53]
	v_fma_f64 v[14:15], v[6:7], s[14:15], v[20:21]
	v_fma_f64 v[6:7], v[6:7], s[0:1], v[22:23]
	v_fma_f64 v[20:21], v[4:5], s[14:15], v[36:37]
	v_fma_f64 v[4:5], v[4:5], s[0:1], v[26:27]
	;; [unrolled: 5-line block ×3, first 2 shown]
	v_mov_b32_e32 v18, 0x7d0
	v_mov_b32_e32 v19, 3
	v_fma_f64 v[14:15], v[24:25], s[6:7], v[14:15]
	v_fma_f64 v[20:21], v[10:11], s[6:7], v[20:21]
	v_mul_u32_u24_sdwa v18, v56, v18 dst_sel:DWORD dst_unused:UNUSED_PAD src0_sel:WORD_0 src1_sel:DWORD
	v_lshlrev_b32_sdwa v19, v19, v57 dst_sel:DWORD dst_unused:UNUSED_PAD src0_sel:DWORD src1_sel:BYTE_0
	v_fma_f64 v[10:11], v[10:11], s[6:7], v[4:5]
	v_add3_u32 v28, 0, v18, v19
	v_fma_f64 v[18:19], v[24:25], s[6:7], v[6:7]
	ds_write2_b64 v28, v[8:9], v[22:23] offset1:50
	ds_write2_b64 v28, v[26:27], v[2:3] offset0:100 offset1:150
	ds_write_b64 v28, v[16:17] offset:1600
	s_waitcnt lgkmcnt(0)
	s_barrier
	buffer_gl0_inv
	ds_read2_b64 v[0:3], v48 offset1:250
	ds_read2_b64 v[4:7], v49 offset0:4 offset1:254
	ds_read_b64 v[8:9], v48 offset:8000
	s_waitcnt lgkmcnt(0)
	s_barrier
	buffer_gl0_inv
	ds_write2_b64 v28, v[12:13], v[14:15] offset1:50
	ds_write2_b64 v28, v[20:21], v[10:11] offset0:100 offset1:150
	ds_write_b64 v28, v[18:19] offset:1600
	s_waitcnt lgkmcnt(0)
	s_barrier
	buffer_gl0_inv
	s_and_saveexec_b32 s18, vcc_lo
	s_cbranch_execz .LBB0_23
; %bb.22:
	v_lshlrev_b32_e32 v10, 2, v65
	v_mov_b32_e32 v11, 0
	v_add_nc_u32_e32 v30, 0xf80, v48
	v_mul_lo_u32 v43, s4, v43
	v_add_nc_u32_e32 v53, 0xfa, v64
	v_add_nc_u32_e32 v55, 0x1f4, v64
	v_lshlrev_b64 v[10:11], 4, v[10:11]
	v_add_nc_u32_e32 v71, 0x2ee, v64
	v_add_nc_u32_e32 v73, 0x3e8, v64
	v_add_co_u32 v12, vcc_lo, s12, v10
	v_add_co_ci_u32_e32 v13, vcc_lo, s13, v11, vcc_lo
	v_add_co_u32 v10, vcc_lo, 0x800, v12
	v_add_co_ci_u32_e32 v11, vcc_lo, 0, v13, vcc_lo
	;; [unrolled: 2-line block ×3, first 2 shown]
	s_clause 0x3
	global_load_dwordx4 v[10:13], v[10:11], off offset:1872
	global_load_dwordx4 v[14:17], v[22:23], off offset:48
	global_load_dwordx4 v[18:21], v[22:23], off offset:16
	global_load_dwordx4 v[22:25], v[22:23], off offset:32
	ds_read2_b64 v[26:29], v48 offset1:250
	ds_read_b64 v[34:35], v48 offset:8000
	ds_read2_b64 v[30:33], v30 offset0:4 offset1:254
	s_waitcnt vmcnt(3)
	v_mul_f64 v[36:37], v[2:3], v[12:13]
	s_waitcnt vmcnt(2)
	v_mul_f64 v[38:39], v[8:9], v[16:17]
	;; [unrolled: 2-line block ×4, first 2 shown]
	s_waitcnt lgkmcnt(2)
	v_mul_f64 v[12:13], v[28:29], v[12:13]
	s_waitcnt lgkmcnt(1)
	v_mul_f64 v[16:17], v[34:35], v[16:17]
	;; [unrolled: 2-line block ×3, first 2 shown]
	v_mul_f64 v[24:25], v[32:33], v[24:25]
	v_fma_f64 v[28:29], v[28:29], v[10:11], -v[36:37]
	v_fma_f64 v[34:35], v[34:35], v[14:15], -v[38:39]
	;; [unrolled: 1-line block ×4, first 2 shown]
	v_fma_f64 v[2:3], v[2:3], v[10:11], v[12:13]
	v_fma_f64 v[8:9], v[8:9], v[14:15], v[16:17]
	v_fma_f64 v[4:5], v[4:5], v[18:19], v[20:21]
	v_fma_f64 v[6:7], v[6:7], v[22:23], v[24:25]
	v_mul_lo_u32 v44, s5, v42
	v_mad_u64_u32 v[10:11], null, s4, v42, 0
	v_mad_u64_u32 v[12:13], null, s2, v64, 0
	v_lshlrev_b64 v[14:15], 4, v[40:41]
	v_mad_u64_u32 v[18:19], null, s2, v53, 0
	v_mad_u64_u32 v[24:25], null, s2, v55, 0
	v_add3_u32 v11, v11, v43, v44
	v_mad_u64_u32 v[42:43], null, s3, v64, v[13:14]
	v_mad_u64_u32 v[38:39], null, s2, v71, 0
	v_add_f64 v[16:17], v[28:29], v[34:35]
	v_add_f64 v[45:46], v[28:29], v[26:27]
	;; [unrolled: 1-line block ×5, first 2 shown]
	v_add_f64 v[49:50], v[2:3], -v[8:9]
	v_add_f64 v[36:37], v[4:5], v[6:7]
	v_add_f64 v[43:44], v[4:5], -v[6:7]
	v_add_f64 v[51:52], v[28:29], -v[34:35]
	v_mov_b32_e32 v13, v19
	v_mov_b32_e32 v19, v25
	v_add_f64 v[57:58], v[32:33], -v[34:35]
	v_add_f64 v[61:62], v[4:5], -v[2:3]
	;; [unrolled: 1-line block ×3, first 2 shown]
	v_mad_u64_u32 v[53:54], null, s3, v53, v[13:14]
	v_add_f64 v[65:66], v[8:9], -v[6:7]
	v_add_f64 v[59:60], v[34:35], -v[32:33]
	;; [unrolled: 1-line block ×3, first 2 shown]
	v_mad_u64_u32 v[40:41], null, s2, v73, 0
	v_lshlrev_b64 v[10:11], 4, v[10:11]
	v_fma_f64 v[16:17], v[16:17], -0.5, v[26:27]
	v_mov_b32_e32 v25, v39
	v_fma_f64 v[20:21], v[20:21], -0.5, v[26:27]
	v_add_f64 v[26:27], v[30:31], -v[32:33]
	v_fma_f64 v[22:23], v[22:23], -0.5, v[0:1]
	v_add_f64 v[4:5], v[4:5], v[47:48]
	v_fma_f64 v[0:1], v[36:37], -0.5, v[0:1]
	v_mov_b32_e32 v36, v41
	v_mov_b32_e32 v13, v42
	v_mad_u64_u32 v[36:37], null, s3, v73, v[36:37]
	v_mov_b32_e32 v41, v36
	v_mad_u64_u32 v[54:55], null, s3, v55, v[19:20]
	v_add_f64 v[55:56], v[30:31], -v[28:29]
	v_add_f64 v[28:29], v[28:29], -v[30:31]
	v_add_f64 v[30:31], v[30:31], v[45:46]
	v_fma_f64 v[45:46], v[43:44], s[16:17], v[16:17]
	v_fma_f64 v[16:17], v[43:44], s[8:9], v[16:17]
	;; [unrolled: 1-line block ×8, first 2 shown]
	v_mad_u64_u32 v[71:72], null, s3, v71, v[25:26]
	v_add_co_u32 v25, vcc_lo, s10, v10
	v_add_co_ci_u32_e32 v37, vcc_lo, s11, v11, vcc_lo
	v_add_f64 v[4:5], v[4:5], v[6:7]
	v_lshlrev_b64 v[40:41], 4, v[40:41]
	v_mov_b32_e32 v39, v71
	v_add_f64 v[10:11], v[55:56], v[57:58]
	v_add_f64 v[57:58], v[2:3], v[65:66]
	;; [unrolled: 1-line block ×4, first 2 shown]
	v_fma_f64 v[6:7], v[49:50], s[0:1], v[45:46]
	v_fma_f64 v[16:17], v[49:50], s[14:15], v[16:17]
	;; [unrolled: 1-line block ×3, first 2 shown]
	v_add_f64 v[55:56], v[61:62], v[63:64]
	v_fma_f64 v[20:21], v[51:52], s[0:1], v[21:22]
	v_fma_f64 v[22:23], v[26:27], s[14:15], v[69:70]
	;; [unrolled: 1-line block ×5, first 2 shown]
	v_mov_b32_e32 v19, v53
	v_add_co_u32 v46, vcc_lo, v25, v14
	v_add_co_ci_u32_e32 v47, vcc_lo, v37, v15, vcc_lo
	v_add_f64 v[0:1], v[4:5], v[8:9]
	v_lshlrev_b64 v[36:37], 4, v[12:13]
	v_lshlrev_b64 v[44:45], 4, v[18:19]
	v_mov_b32_e32 v25, v54
	v_lshlrev_b64 v[38:39], 4, v[38:39]
	v_add_f64 v[2:3], v[34:35], v[2:3]
	v_fma_f64 v[6:7], v[10:11], s[6:7], v[6:7]
	v_fma_f64 v[10:11], v[10:11], s[6:7], v[16:17]
	v_fma_f64 v[18:19], v[28:29], s[6:7], v[32:33]
	v_lshlrev_b64 v[24:25], 4, v[24:25]
	v_fma_f64 v[8:9], v[55:56], s[6:7], v[20:21]
	v_fma_f64 v[12:13], v[57:58], s[6:7], v[22:23]
	;; [unrolled: 1-line block ×5, first 2 shown]
	v_add_co_u32 v20, vcc_lo, v46, v36
	v_add_co_ci_u32_e32 v21, vcc_lo, v47, v37, vcc_lo
	v_add_co_u32 v22, vcc_lo, v46, v44
	v_add_co_ci_u32_e32 v23, vcc_lo, v47, v45, vcc_lo
	;; [unrolled: 2-line block ×5, first 2 shown]
	global_store_dwordx4 v[20:21], v[0:3], off
	global_store_dwordx4 v[22:23], v[16:19], off
	;; [unrolled: 1-line block ×5, first 2 shown]
.LBB0_23:
	s_endpgm
	.section	.rodata,"a",@progbits
	.p2align	6, 0x0
	.amdhsa_kernel fft_rtc_back_len1250_factors_5_10_5_5_wgs_250_tpt_250_halfLds_dp_op_CI_CI_sbrr_dirReg
		.amdhsa_group_segment_fixed_size 0
		.amdhsa_private_segment_fixed_size 0
		.amdhsa_kernarg_size 104
		.amdhsa_user_sgpr_count 6
		.amdhsa_user_sgpr_private_segment_buffer 1
		.amdhsa_user_sgpr_dispatch_ptr 0
		.amdhsa_user_sgpr_queue_ptr 0
		.amdhsa_user_sgpr_kernarg_segment_ptr 1
		.amdhsa_user_sgpr_dispatch_id 0
		.amdhsa_user_sgpr_flat_scratch_init 0
		.amdhsa_user_sgpr_private_segment_size 0
		.amdhsa_wavefront_size32 1
		.amdhsa_uses_dynamic_stack 0
		.amdhsa_system_sgpr_private_segment_wavefront_offset 0
		.amdhsa_system_sgpr_workgroup_id_x 1
		.amdhsa_system_sgpr_workgroup_id_y 0
		.amdhsa_system_sgpr_workgroup_id_z 0
		.amdhsa_system_sgpr_workgroup_info 0
		.amdhsa_system_vgpr_workitem_id 0
		.amdhsa_next_free_vgpr 95
		.amdhsa_next_free_sgpr 31
		.amdhsa_reserve_vcc 1
		.amdhsa_reserve_flat_scratch 0
		.amdhsa_float_round_mode_32 0
		.amdhsa_float_round_mode_16_64 0
		.amdhsa_float_denorm_mode_32 3
		.amdhsa_float_denorm_mode_16_64 3
		.amdhsa_dx10_clamp 1
		.amdhsa_ieee_mode 1
		.amdhsa_fp16_overflow 0
		.amdhsa_workgroup_processor_mode 1
		.amdhsa_memory_ordered 1
		.amdhsa_forward_progress 0
		.amdhsa_shared_vgpr_count 0
		.amdhsa_exception_fp_ieee_invalid_op 0
		.amdhsa_exception_fp_denorm_src 0
		.amdhsa_exception_fp_ieee_div_zero 0
		.amdhsa_exception_fp_ieee_overflow 0
		.amdhsa_exception_fp_ieee_underflow 0
		.amdhsa_exception_fp_ieee_inexact 0
		.amdhsa_exception_int_div_zero 0
	.end_amdhsa_kernel
	.text
.Lfunc_end0:
	.size	fft_rtc_back_len1250_factors_5_10_5_5_wgs_250_tpt_250_halfLds_dp_op_CI_CI_sbrr_dirReg, .Lfunc_end0-fft_rtc_back_len1250_factors_5_10_5_5_wgs_250_tpt_250_halfLds_dp_op_CI_CI_sbrr_dirReg
                                        ; -- End function
	.section	.AMDGPU.csdata,"",@progbits
; Kernel info:
; codeLenInByte = 6528
; NumSgprs: 33
; NumVgprs: 95
; ScratchSize: 0
; MemoryBound: 1
; FloatMode: 240
; IeeeMode: 1
; LDSByteSize: 0 bytes/workgroup (compile time only)
; SGPRBlocks: 4
; VGPRBlocks: 11
; NumSGPRsForWavesPerEU: 33
; NumVGPRsForWavesPerEU: 95
; Occupancy: 10
; WaveLimiterHint : 1
; COMPUTE_PGM_RSRC2:SCRATCH_EN: 0
; COMPUTE_PGM_RSRC2:USER_SGPR: 6
; COMPUTE_PGM_RSRC2:TRAP_HANDLER: 0
; COMPUTE_PGM_RSRC2:TGID_X_EN: 1
; COMPUTE_PGM_RSRC2:TGID_Y_EN: 0
; COMPUTE_PGM_RSRC2:TGID_Z_EN: 0
; COMPUTE_PGM_RSRC2:TIDIG_COMP_CNT: 0
	.text
	.p2alignl 6, 3214868480
	.fill 48, 4, 3214868480
	.type	__hip_cuid_9d9cbee8cd09ee2e,@object ; @__hip_cuid_9d9cbee8cd09ee2e
	.section	.bss,"aw",@nobits
	.globl	__hip_cuid_9d9cbee8cd09ee2e
__hip_cuid_9d9cbee8cd09ee2e:
	.byte	0                               ; 0x0
	.size	__hip_cuid_9d9cbee8cd09ee2e, 1

	.ident	"AMD clang version 19.0.0git (https://github.com/RadeonOpenCompute/llvm-project roc-6.4.0 25133 c7fe45cf4b819c5991fe208aaa96edf142730f1d)"
	.section	".note.GNU-stack","",@progbits
	.addrsig
	.addrsig_sym __hip_cuid_9d9cbee8cd09ee2e
	.amdgpu_metadata
---
amdhsa.kernels:
  - .args:
      - .actual_access:  read_only
        .address_space:  global
        .offset:         0
        .size:           8
        .value_kind:     global_buffer
      - .offset:         8
        .size:           8
        .value_kind:     by_value
      - .actual_access:  read_only
        .address_space:  global
        .offset:         16
        .size:           8
        .value_kind:     global_buffer
      - .actual_access:  read_only
        .address_space:  global
        .offset:         24
        .size:           8
        .value_kind:     global_buffer
      - .actual_access:  read_only
        .address_space:  global
        .offset:         32
        .size:           8
        .value_kind:     global_buffer
      - .offset:         40
        .size:           8
        .value_kind:     by_value
      - .actual_access:  read_only
        .address_space:  global
        .offset:         48
        .size:           8
        .value_kind:     global_buffer
      - .actual_access:  read_only
        .address_space:  global
        .offset:         56
        .size:           8
        .value_kind:     global_buffer
      - .offset:         64
        .size:           4
        .value_kind:     by_value
      - .actual_access:  read_only
        .address_space:  global
        .offset:         72
        .size:           8
        .value_kind:     global_buffer
      - .actual_access:  read_only
        .address_space:  global
        .offset:         80
        .size:           8
        .value_kind:     global_buffer
      - .actual_access:  read_only
        .address_space:  global
        .offset:         88
        .size:           8
        .value_kind:     global_buffer
      - .actual_access:  write_only
        .address_space:  global
        .offset:         96
        .size:           8
        .value_kind:     global_buffer
    .group_segment_fixed_size: 0
    .kernarg_segment_align: 8
    .kernarg_segment_size: 104
    .language:       OpenCL C
    .language_version:
      - 2
      - 0
    .max_flat_workgroup_size: 250
    .name:           fft_rtc_back_len1250_factors_5_10_5_5_wgs_250_tpt_250_halfLds_dp_op_CI_CI_sbrr_dirReg
    .private_segment_fixed_size: 0
    .sgpr_count:     33
    .sgpr_spill_count: 0
    .symbol:         fft_rtc_back_len1250_factors_5_10_5_5_wgs_250_tpt_250_halfLds_dp_op_CI_CI_sbrr_dirReg.kd
    .uniform_work_group_size: 1
    .uses_dynamic_stack: false
    .vgpr_count:     95
    .vgpr_spill_count: 0
    .wavefront_size: 32
    .workgroup_processor_mode: 1
amdhsa.target:   amdgcn-amd-amdhsa--gfx1030
amdhsa.version:
  - 1
  - 2
...

	.end_amdgpu_metadata
